;; amdgpu-corpus repo=ROCm/rocFFT kind=compiled arch=gfx906 opt=O3
	.text
	.amdgcn_target "amdgcn-amd-amdhsa--gfx906"
	.amdhsa_code_object_version 6
	.protected	fft_rtc_fwd_len1404_factors_2_2_3_13_3_3_wgs_117_tpt_117_halfLds_sp_ip_CI_sbrr_dirReg ; -- Begin function fft_rtc_fwd_len1404_factors_2_2_3_13_3_3_wgs_117_tpt_117_halfLds_sp_ip_CI_sbrr_dirReg
	.globl	fft_rtc_fwd_len1404_factors_2_2_3_13_3_3_wgs_117_tpt_117_halfLds_sp_ip_CI_sbrr_dirReg
	.p2align	8
	.type	fft_rtc_fwd_len1404_factors_2_2_3_13_3_3_wgs_117_tpt_117_halfLds_sp_ip_CI_sbrr_dirReg,@function
fft_rtc_fwd_len1404_factors_2_2_3_13_3_3_wgs_117_tpt_117_halfLds_sp_ip_CI_sbrr_dirReg: ; @fft_rtc_fwd_len1404_factors_2_2_3_13_3_3_wgs_117_tpt_117_halfLds_sp_ip_CI_sbrr_dirReg
; %bb.0:
	s_load_dwordx2 s[14:15], s[4:5], 0x18
	s_load_dwordx4 s[8:11], s[4:5], 0x0
	s_load_dwordx2 s[12:13], s[4:5], 0x50
	v_mul_u32_u24_e32 v1, 0x231, v0
	v_add_u32_sdwa v5, s6, v1 dst_sel:DWORD dst_unused:UNUSED_PAD src0_sel:DWORD src1_sel:WORD_1
	s_waitcnt lgkmcnt(0)
	s_load_dwordx2 s[2:3], s[14:15], 0x0
	v_cmp_lt_u64_e64 s[0:1], s[10:11], 2
	v_mov_b32_e32 v3, 0
	v_mov_b32_e32 v1, 0
	;; [unrolled: 1-line block ×3, first 2 shown]
	s_and_b64 vcc, exec, s[0:1]
	v_mov_b32_e32 v2, 0
	s_cbranch_vccnz .LBB0_8
; %bb.1:
	s_load_dwordx2 s[0:1], s[4:5], 0x10
	s_add_u32 s6, s14, 8
	s_addc_u32 s7, s15, 0
	v_mov_b32_e32 v1, 0
	v_mov_b32_e32 v2, 0
	s_waitcnt lgkmcnt(0)
	s_add_u32 s16, s0, 8
	s_addc_u32 s17, s1, 0
	s_mov_b64 s[18:19], 1
.LBB0_2:                                ; =>This Inner Loop Header: Depth=1
	s_load_dwordx2 s[20:21], s[16:17], 0x0
                                        ; implicit-def: $vgpr7_vgpr8
	s_waitcnt lgkmcnt(0)
	v_or_b32_e32 v4, s21, v6
	v_cmp_ne_u64_e32 vcc, 0, v[3:4]
	s_and_saveexec_b64 s[0:1], vcc
	s_xor_b64 s[22:23], exec, s[0:1]
	s_cbranch_execz .LBB0_4
; %bb.3:                                ;   in Loop: Header=BB0_2 Depth=1
	v_cvt_f32_u32_e32 v4, s20
	v_cvt_f32_u32_e32 v7, s21
	s_sub_u32 s0, 0, s20
	s_subb_u32 s1, 0, s21
	v_mac_f32_e32 v4, 0x4f800000, v7
	v_rcp_f32_e32 v4, v4
	v_mul_f32_e32 v4, 0x5f7ffffc, v4
	v_mul_f32_e32 v7, 0x2f800000, v4
	v_trunc_f32_e32 v7, v7
	v_mac_f32_e32 v4, 0xcf800000, v7
	v_cvt_u32_f32_e32 v7, v7
	v_cvt_u32_f32_e32 v4, v4
	v_mul_lo_u32 v8, s0, v7
	v_mul_hi_u32 v9, s0, v4
	v_mul_lo_u32 v11, s1, v4
	v_mul_lo_u32 v10, s0, v4
	v_add_u32_e32 v8, v9, v8
	v_add_u32_e32 v8, v8, v11
	v_mul_hi_u32 v9, v4, v10
	v_mul_lo_u32 v11, v4, v8
	v_mul_hi_u32 v13, v4, v8
	v_mul_hi_u32 v12, v7, v10
	v_mul_lo_u32 v10, v7, v10
	v_mul_hi_u32 v14, v7, v8
	v_add_co_u32_e32 v9, vcc, v9, v11
	v_addc_co_u32_e32 v11, vcc, 0, v13, vcc
	v_mul_lo_u32 v8, v7, v8
	v_add_co_u32_e32 v9, vcc, v9, v10
	v_addc_co_u32_e32 v9, vcc, v11, v12, vcc
	v_addc_co_u32_e32 v10, vcc, 0, v14, vcc
	v_add_co_u32_e32 v8, vcc, v9, v8
	v_addc_co_u32_e32 v9, vcc, 0, v10, vcc
	v_add_co_u32_e32 v4, vcc, v4, v8
	v_addc_co_u32_e32 v7, vcc, v7, v9, vcc
	v_mul_lo_u32 v8, s0, v7
	v_mul_hi_u32 v9, s0, v4
	v_mul_lo_u32 v10, s1, v4
	v_mul_lo_u32 v11, s0, v4
	v_add_u32_e32 v8, v9, v8
	v_add_u32_e32 v8, v8, v10
	v_mul_lo_u32 v12, v4, v8
	v_mul_hi_u32 v13, v4, v11
	v_mul_hi_u32 v14, v4, v8
	;; [unrolled: 1-line block ×3, first 2 shown]
	v_mul_lo_u32 v11, v7, v11
	v_mul_hi_u32 v9, v7, v8
	v_add_co_u32_e32 v12, vcc, v13, v12
	v_addc_co_u32_e32 v13, vcc, 0, v14, vcc
	v_mul_lo_u32 v8, v7, v8
	v_add_co_u32_e32 v11, vcc, v12, v11
	v_addc_co_u32_e32 v10, vcc, v13, v10, vcc
	v_addc_co_u32_e32 v9, vcc, 0, v9, vcc
	v_add_co_u32_e32 v8, vcc, v10, v8
	v_addc_co_u32_e32 v9, vcc, 0, v9, vcc
	v_add_co_u32_e32 v4, vcc, v4, v8
	v_addc_co_u32_e32 v9, vcc, v7, v9, vcc
	v_mad_u64_u32 v[7:8], s[0:1], v5, v9, 0
	v_mul_hi_u32 v10, v5, v4
	v_add_co_u32_e32 v11, vcc, v10, v7
	v_addc_co_u32_e32 v12, vcc, 0, v8, vcc
	v_mad_u64_u32 v[7:8], s[0:1], v6, v4, 0
	v_mad_u64_u32 v[9:10], s[0:1], v6, v9, 0
	v_add_co_u32_e32 v4, vcc, v11, v7
	v_addc_co_u32_e32 v4, vcc, v12, v8, vcc
	v_addc_co_u32_e32 v7, vcc, 0, v10, vcc
	v_add_co_u32_e32 v4, vcc, v4, v9
	v_addc_co_u32_e32 v9, vcc, 0, v7, vcc
	v_mul_lo_u32 v10, s21, v4
	v_mul_lo_u32 v11, s20, v9
	v_mad_u64_u32 v[7:8], s[0:1], s20, v4, 0
	v_add3_u32 v8, v8, v11, v10
	v_sub_u32_e32 v10, v6, v8
	v_mov_b32_e32 v11, s21
	v_sub_co_u32_e32 v7, vcc, v5, v7
	v_subb_co_u32_e64 v10, s[0:1], v10, v11, vcc
	v_subrev_co_u32_e64 v11, s[0:1], s20, v7
	v_subbrev_co_u32_e64 v10, s[0:1], 0, v10, s[0:1]
	v_cmp_le_u32_e64 s[0:1], s21, v10
	v_cndmask_b32_e64 v12, 0, -1, s[0:1]
	v_cmp_le_u32_e64 s[0:1], s20, v11
	v_cndmask_b32_e64 v11, 0, -1, s[0:1]
	v_cmp_eq_u32_e64 s[0:1], s21, v10
	v_cndmask_b32_e64 v10, v12, v11, s[0:1]
	v_add_co_u32_e64 v11, s[0:1], 2, v4
	v_addc_co_u32_e64 v12, s[0:1], 0, v9, s[0:1]
	v_add_co_u32_e64 v13, s[0:1], 1, v4
	v_addc_co_u32_e64 v14, s[0:1], 0, v9, s[0:1]
	v_subb_co_u32_e32 v8, vcc, v6, v8, vcc
	v_cmp_ne_u32_e64 s[0:1], 0, v10
	v_cmp_le_u32_e32 vcc, s21, v8
	v_cndmask_b32_e64 v10, v14, v12, s[0:1]
	v_cndmask_b32_e64 v12, 0, -1, vcc
	v_cmp_le_u32_e32 vcc, s20, v7
	v_cndmask_b32_e64 v7, 0, -1, vcc
	v_cmp_eq_u32_e32 vcc, s21, v8
	v_cndmask_b32_e32 v7, v12, v7, vcc
	v_cmp_ne_u32_e32 vcc, 0, v7
	v_cndmask_b32_e64 v7, v13, v11, s[0:1]
	v_cndmask_b32_e32 v8, v9, v10, vcc
	v_cndmask_b32_e32 v7, v4, v7, vcc
.LBB0_4:                                ;   in Loop: Header=BB0_2 Depth=1
	s_andn2_saveexec_b64 s[0:1], s[22:23]
	s_cbranch_execz .LBB0_6
; %bb.5:                                ;   in Loop: Header=BB0_2 Depth=1
	v_cvt_f32_u32_e32 v4, s20
	s_sub_i32 s22, 0, s20
	v_rcp_iflag_f32_e32 v4, v4
	v_mul_f32_e32 v4, 0x4f7ffffe, v4
	v_cvt_u32_f32_e32 v4, v4
	v_mul_lo_u32 v7, s22, v4
	v_mul_hi_u32 v7, v4, v7
	v_add_u32_e32 v4, v4, v7
	v_mul_hi_u32 v4, v5, v4
	v_mul_lo_u32 v7, v4, s20
	v_add_u32_e32 v8, 1, v4
	v_sub_u32_e32 v7, v5, v7
	v_subrev_u32_e32 v9, s20, v7
	v_cmp_le_u32_e32 vcc, s20, v7
	v_cndmask_b32_e32 v7, v7, v9, vcc
	v_cndmask_b32_e32 v4, v4, v8, vcc
	v_add_u32_e32 v8, 1, v4
	v_cmp_le_u32_e32 vcc, s20, v7
	v_cndmask_b32_e32 v7, v4, v8, vcc
	v_mov_b32_e32 v8, v3
.LBB0_6:                                ;   in Loop: Header=BB0_2 Depth=1
	s_or_b64 exec, exec, s[0:1]
	v_mul_lo_u32 v4, v8, s20
	v_mul_lo_u32 v11, v7, s21
	v_mad_u64_u32 v[9:10], s[0:1], v7, s20, 0
	s_load_dwordx2 s[0:1], s[6:7], 0x0
	s_add_u32 s18, s18, 1
	v_add3_u32 v4, v10, v11, v4
	v_sub_co_u32_e32 v5, vcc, v5, v9
	v_subb_co_u32_e32 v4, vcc, v6, v4, vcc
	s_waitcnt lgkmcnt(0)
	v_mul_lo_u32 v4, s0, v4
	v_mul_lo_u32 v6, s1, v5
	v_mad_u64_u32 v[1:2], s[0:1], s0, v5, v[1:2]
	s_addc_u32 s19, s19, 0
	s_add_u32 s6, s6, 8
	v_add3_u32 v2, v6, v2, v4
	v_mov_b32_e32 v4, s10
	v_mov_b32_e32 v5, s11
	s_addc_u32 s7, s7, 0
	v_cmp_ge_u64_e32 vcc, s[18:19], v[4:5]
	s_add_u32 s16, s16, 8
	s_addc_u32 s17, s17, 0
	s_cbranch_vccnz .LBB0_9
; %bb.7:                                ;   in Loop: Header=BB0_2 Depth=1
	v_mov_b32_e32 v5, v7
	v_mov_b32_e32 v6, v8
	s_branch .LBB0_2
.LBB0_8:
	v_mov_b32_e32 v8, v6
	v_mov_b32_e32 v7, v5
.LBB0_9:
	s_lshl_b64 s[0:1], s[10:11], 3
	s_add_u32 s0, s14, s0
	s_addc_u32 s1, s15, s1
	s_load_dwordx2 s[6:7], s[0:1], 0x0
	s_load_dwordx2 s[10:11], s[4:5], 0x20
                                        ; implicit-def: $vgpr32
                                        ; implicit-def: $vgpr34
                                        ; implicit-def: $vgpr35
                                        ; implicit-def: $vgpr26
                                        ; implicit-def: $vgpr27
	s_waitcnt lgkmcnt(0)
	v_mad_u64_u32 v[1:2], s[0:1], s6, v7, v[1:2]
	s_mov_b32 s0, 0x2302303
	v_mul_lo_u32 v3, s6, v8
	v_mul_lo_u32 v4, s7, v7
	v_mul_hi_u32 v5, v0, s0
	v_cmp_gt_u64_e32 vcc, s[10:11], v[7:8]
	v_cmp_le_u64_e64 s[0:1], s[10:11], v[7:8]
	v_add3_u32 v2, v4, v2, v3
	v_mul_u32_u24_e32 v3, 0x75, v5
	v_sub_u32_e32 v31, v0, v3
                                        ; implicit-def: $sgpr6_sgpr7
	s_and_saveexec_b64 s[4:5], s[0:1]
	s_xor_b64 s[0:1], exec, s[4:5]
; %bb.10:
	v_add_u32_e32 v32, 0x75, v31
	v_add_u32_e32 v34, 0xea, v31
	;; [unrolled: 1-line block ×5, first 2 shown]
	s_mov_b64 s[6:7], 0
; %bb.11:
	s_or_saveexec_b64 s[4:5], s[0:1]
	v_mov_b32_e32 v23, s7
	v_lshlrev_b64 v[0:1], 3, v[1:2]
	v_mov_b32_e32 v13, s7
	v_mov_b32_e32 v15, s7
	;; [unrolled: 1-line block ×11, first 2 shown]
                                        ; implicit-def: $vgpr25
                                        ; implicit-def: $vgpr3
                                        ; implicit-def: $vgpr5
                                        ; implicit-def: $vgpr9
                                        ; implicit-def: $vgpr7
                                        ; implicit-def: $vgpr11
	s_xor_b64 exec, exec, s[4:5]
	s_cbranch_execz .LBB0_13
; %bb.12:
	v_mad_u64_u32 v[2:3], s[0:1], s2, v31, 0
	v_add_u32_e32 v7, 0x2be, v31
	v_mov_b32_e32 v6, s13
	v_mad_u64_u32 v[3:4], s[0:1], s3, v31, v[3:4]
	v_mad_u64_u32 v[4:5], s[0:1], s2, v7, 0
	v_add_co_u32_e64 v10, s[0:1], s12, v0
	v_addc_co_u32_e64 v11, s[0:1], v6, v1, s[0:1]
	v_mad_u64_u32 v[5:6], s[0:1], s3, v7, v[5:6]
	v_add_u32_e32 v32, 0x75, v31
	v_mad_u64_u32 v[6:7], s[0:1], s2, v32, 0
	v_lshlrev_b64 v[2:3], 3, v[2:3]
	v_add_u32_e32 v34, 0xea, v31
	v_add_co_u32_e64 v28, s[0:1], v10, v2
	v_addc_co_u32_e64 v29, s[0:1], v11, v3, s[0:1]
	v_lshlrev_b64 v[2:3], 3, v[4:5]
	v_mov_b32_e32 v4, v7
	v_mad_u64_u32 v[4:5], s[0:1], s3, v32, v[4:5]
	v_add_u32_e32 v5, 0x333, v31
	v_mad_u64_u32 v[8:9], s[0:1], s2, v5, 0
	v_add_co_u32_e64 v36, s[0:1], v10, v2
	v_mov_b32_e32 v7, v4
	v_mov_b32_e32 v4, v9
	v_addc_co_u32_e64 v37, s[0:1], v11, v3, s[0:1]
	v_mad_u64_u32 v[4:5], s[0:1], s3, v5, v[4:5]
	v_lshlrev_b64 v[2:3], 3, v[6:7]
	v_mad_u64_u32 v[5:6], s[0:1], s2, v34, 0
	v_add_co_u32_e64 v38, s[0:1], v10, v2
	v_mov_b32_e32 v9, v4
	v_mov_b32_e32 v4, v6
	v_addc_co_u32_e64 v39, s[0:1], v11, v3, s[0:1]
	v_lshlrev_b64 v[2:3], 3, v[8:9]
	v_mad_u64_u32 v[6:7], s[0:1], s3, v34, v[4:5]
	v_add_u32_e32 v9, 0x3a8, v31
	v_mad_u64_u32 v[7:8], s[0:1], s2, v9, 0
	v_add_co_u32_e64 v40, s[0:1], v10, v2
	v_mov_b32_e32 v4, v8
	v_addc_co_u32_e64 v41, s[0:1], v11, v3, s[0:1]
	v_lshlrev_b64 v[2:3], 3, v[5:6]
	v_mad_u64_u32 v[4:5], s[0:1], s3, v9, v[4:5]
	v_add_u32_e32 v35, 0x15f, v31
	v_mad_u64_u32 v[5:6], s[0:1], s2, v35, 0
	v_add_co_u32_e64 v42, s[0:1], v10, v2
	v_mov_b32_e32 v8, v4
	v_mov_b32_e32 v4, v6
	v_addc_co_u32_e64 v43, s[0:1], v11, v3, s[0:1]
	v_lshlrev_b64 v[2:3], 3, v[7:8]
	v_mad_u64_u32 v[6:7], s[0:1], s3, v35, v[4:5]
	v_add_u32_e32 v9, 0x41d, v31
	v_mad_u64_u32 v[7:8], s[0:1], s2, v9, 0
	v_add_co_u32_e64 v44, s[0:1], v10, v2
	v_mov_b32_e32 v4, v8
	v_addc_co_u32_e64 v45, s[0:1], v11, v3, s[0:1]
	v_lshlrev_b64 v[2:3], 3, v[5:6]
	v_mad_u64_u32 v[4:5], s[0:1], s3, v9, v[4:5]
	v_add_u32_e32 v26, 0x1d4, v31
	;; [unrolled: 15-line block ×3, first 2 shown]
	v_mad_u64_u32 v[5:6], s[0:1], s2, v27, 0
	v_add_co_u32_e64 v50, s[0:1], v10, v2
	v_mov_b32_e32 v8, v4
	v_mov_b32_e32 v4, v6
	v_addc_co_u32_e64 v51, s[0:1], v11, v3, s[0:1]
	v_lshlrev_b64 v[2:3], 3, v[7:8]
	v_mad_u64_u32 v[6:7], s[0:1], s3, v27, v[4:5]
	v_add_u32_e32 v9, 0x507, v31
	v_mad_u64_u32 v[7:8], s[0:1], s2, v9, 0
	v_add_co_u32_e64 v52, s[0:1], v10, v2
	v_mov_b32_e32 v4, v8
	v_addc_co_u32_e64 v53, s[0:1], v11, v3, s[0:1]
	v_lshlrev_b64 v[2:3], 3, v[5:6]
	v_mad_u64_u32 v[4:5], s[0:1], s3, v9, v[4:5]
	v_add_co_u32_e64 v54, s[0:1], v10, v2
	v_mov_b32_e32 v8, v4
	v_addc_co_u32_e64 v55, s[0:1], v11, v3, s[0:1]
	v_lshlrev_b64 v[2:3], 3, v[7:8]
	v_add_co_u32_e64 v56, s[0:1], v10, v2
	v_addc_co_u32_e64 v57, s[0:1], v11, v3, s[0:1]
	global_load_dwordx2 v[22:23], v[28:29], off
	global_load_dwordx2 v[24:25], v[36:37], off
	;; [unrolled: 1-line block ×12, first 2 shown]
.LBB0_13:
	s_or_b64 exec, exec, s[4:5]
	s_waitcnt vmcnt(10)
	v_sub_f32_e32 v29, v22, v24
	v_fma_f32 v28, v22, 2.0, -v29
	s_waitcnt vmcnt(8)
	v_sub_f32_e32 v39, v12, v2
	s_waitcnt vmcnt(6)
	v_sub_f32_e32 v41, v14, v4
	v_lshl_add_u32 v2, v31, 3, 0
	v_fma_f32 v38, v12, 2.0, -v39
	v_fma_f32 v40, v14, 2.0, -v41
	ds_write_b64 v2, v[28:29]
	s_waitcnt vmcnt(4)
	v_sub_f32_e32 v29, v16, v10
	v_lshl_add_u32 v37, v32, 3, 0
	v_lshl_add_u32 v36, v34, 3, 0
	v_fma_f32 v28, v16, 2.0, -v29
	ds_write_b64 v37, v[38:39]
	ds_write_b64 v36, v[40:41]
	s_waitcnt vmcnt(2)
	v_sub_f32_e32 v41, v18, v6
	v_lshl_add_u32 v38, v35, 3, 0
	v_sub_f32_e32 v24, v23, v25
	v_fma_f32 v40, v18, 2.0, -v41
	ds_write_b64 v38, v[28:29]
	v_lshl_add_u32 v39, v26, 3, 0
	s_waitcnt vmcnt(0)
	v_sub_f32_e32 v29, v20, v8
	v_lshlrev_b32_e32 v4, 2, v31
	v_fma_f32 v23, v23, 2.0, -v24
	ds_write_b64 v39, v[40:41]
	v_fma_f32 v28, v20, 2.0, -v29
	v_lshl_add_u32 v12, v27, 3, 0
	v_sub_u32_e32 v33, v2, v4
	v_lshlrev_b32_e32 v4, 2, v27
	v_lshlrev_b32_e32 v40, 2, v32
	;; [unrolled: 1-line block ×5, first 2 shown]
	v_sub_f32_e32 v3, v13, v3
	ds_write_b64 v12, v[28:29]
	s_waitcnt lgkmcnt(0)
	s_barrier
	v_sub_u32_e32 v14, v12, v4
	v_add_u32_e32 v16, 0xa00, v33
	v_sub_u32_e32 v58, v37, v40
	v_sub_u32_e32 v59, v36, v41
	v_add_u32_e32 v18, 0xe00, v33
	v_sub_u32_e32 v60, v38, v42
	v_sub_u32_e32 v61, v39, v43
	v_add_u32_e32 v20, 0x1200, v33
	ds_read_b32 v22, v33
	ds_read_b32 v25, v58
	;; [unrolled: 1-line block ×6, first 2 shown]
	ds_read2_b32 v[28:29], v16 offset0:62 offset1:179
	ds_read2_b32 v[44:45], v18 offset0:40 offset1:157
	;; [unrolled: 1-line block ×3, first 2 shown]
	s_waitcnt lgkmcnt(0)
	s_barrier
	ds_write_b64 v2, v[23:24]
	v_fma_f32 v2, v13, 2.0, -v3
	v_sub_f32_e32 v5, v15, v5
	v_sub_f32_e32 v11, v17, v11
	;; [unrolled: 1-line block ×4, first 2 shown]
	v_fma_f32 v4, v15, 2.0, -v5
	v_fma_f32 v10, v17, 2.0, -v11
	;; [unrolled: 1-line block ×4, first 2 shown]
	ds_write_b64 v37, v[2:3]
	ds_write_b64 v36, v[4:5]
	;; [unrolled: 1-line block ×5, first 2 shown]
	v_and_b32_e32 v12, 1, v32
	v_lshlrev_b32_e32 v8, 3, v12
	v_and_b32_e32 v13, 1, v35
	v_and_b32_e32 v15, 1, v27
	s_waitcnt lgkmcnt(0)
	s_barrier
	v_lshlrev_b32_e32 v9, 3, v13
	v_lshlrev_b32_e32 v10, 3, v15
	global_load_dwordx2 v[2:3], v8, s[8:9]
	global_load_dwordx2 v[4:5], v9, s[8:9]
	;; [unrolled: 1-line block ×3, first 2 shown]
	v_and_b32_e32 v17, 1, v31
	v_lshlrev_b32_e32 v8, 3, v17
	global_load_dwordx2 v[8:9], v8, s[8:9]
	ds_read2_b32 v[10:11], v16 offset0:62 offset1:179
	s_movk_i32 s0, 0xfc
	v_and_b32_e32 v64, 3, v32
	v_and_b32_e32 v65, 3, v34
	v_and_b32_e32 v66, 3, v31
	v_and_b32_e32 v67, 3, v35
	s_waitcnt vmcnt(3) lgkmcnt(0)
	v_mul_f32_e32 v16, v11, v3
	v_mul_f32_e32 v19, v29, v3
	v_fma_f32 v16, v29, v2, -v16
	v_fmac_f32_e32 v19, v11, v2
	ds_read2_b32 v[2:3], v18 offset0:40 offset1:157
	s_waitcnt vmcnt(0)
	v_mul_f32_e32 v18, v28, v9
	v_mul_f32_e32 v11, v10, v9
	v_fmac_f32_e32 v18, v10, v8
	v_mul_f32_e32 v21, v45, v5
	s_waitcnt lgkmcnt(0)
	v_mul_f32_e32 v10, v3, v5
	v_fma_f32 v10, v45, v4, -v10
	v_fmac_f32_e32 v21, v3, v4
	ds_read2_b32 v[3:4], v20 offset0:18 offset1:135
	v_mul_f32_e32 v20, v44, v9
	v_mul_f32_e32 v5, v2, v9
	v_fmac_f32_e32 v20, v2, v8
	v_mul_f32_e32 v24, v46, v9
	s_waitcnt lgkmcnt(0)
	v_mul_f32_e32 v2, v3, v9
	v_fma_f32 v23, v46, v8, -v2
	v_mul_f32_e32 v2, v4, v7
	v_fma_f32 v11, v28, v8, -v11
	v_fmac_f32_e32 v24, v3, v8
	v_fma_f32 v3, v47, v6, -v2
	v_mul_f32_e32 v28, v47, v7
	v_lshlrev_b32_e32 v2, 1, v31
	v_fma_f32 v5, v44, v8, -v5
	v_fmac_f32_e32 v28, v4, v6
	v_sub_f32_e32 v4, v22, v11
	v_and_or_b32 v8, v2, s0, v17
	v_fma_f32 v6, v22, 2.0, -v4
	v_lshl_add_u32 v51, v8, 2, 0
	ds_read_b32 v7, v33
	ds_read_b32 v11, v58
	;; [unrolled: 1-line block ×6, first 2 shown]
	s_waitcnt lgkmcnt(0)
	s_barrier
	ds_write2_b32 v51, v6, v4 offset1:2
	s_movk_i32 s0, 0x1fc
	v_lshlrev_b32_e32 v4, 1, v32
	v_sub_f32_e32 v6, v25, v16
	v_and_or_b32 v9, v4, s0, v12
	v_fma_f32 v8, v25, 2.0, -v6
	v_lshl_add_u32 v25, v9, 2, 0
	ds_write2_b32 v25, v8, v6 offset1:2
	v_sub_f32_e32 v6, v30, v5
	s_movk_i32 s0, 0x3fc
	v_lshlrev_b32_e32 v5, 1, v34
	v_and_or_b32 v9, v5, s0, v17
	v_fma_f32 v8, v30, 2.0, -v6
	v_lshl_add_u32 v30, v9, 2, 0
	ds_write2_b32 v30, v8, v6 offset1:2
	v_lshlrev_b32_e32 v6, 1, v35
	v_sub_f32_e32 v8, v48, v10
	v_and_or_b32 v10, v6, s0, v13
	v_fma_f32 v9, v48, 2.0, -v8
	v_lshl_add_u32 v48, v10, 2, 0
	ds_write2_b32 v48, v9, v8 offset1:2
	v_lshlrev_b32_e32 v8, 1, v26
	s_movk_i32 s0, 0x7fc
	v_and_or_b32 v8, v8, s0, v17
	v_sub_f32_e32 v9, v49, v23
	v_lshl_add_u32 v23, v8, 2, 0
	v_lshlrev_b32_e32 v8, 1, v27
	s_movk_i32 s0, 0x5fc
	v_fma_f32 v10, v49, 2.0, -v9
	v_and_or_b32 v8, v8, s0, v15
	v_sub_f32_e32 v3, v50, v3
	v_sub_f32_e32 v18, v7, v18
	ds_write2_b32 v23, v10, v9 offset1:2
	v_fma_f32 v9, v50, 2.0, -v3
	v_lshl_add_u32 v26, v8, 2, 0
	v_fma_f32 v27, v7, 2.0, -v18
	ds_write2_b32 v26, v9, v3 offset1:2
	s_waitcnt lgkmcnt(0)
	s_barrier
	v_add_u32_e32 v3, 0xc00, v33
	v_add_u32_e32 v10, 0x800, v33
	;; [unrolled: 1-line block ×3, first 2 shown]
	ds_read_b32 v62, v61
	ds_read_b32 v12, v60
	;; [unrolled: 1-line block ×4, first 2 shown]
	ds_read_b32 v63, v33 offset:5148
	ds_read_b32 v17, v33
	ds_read2_b32 v[7:8], v3 offset0:51 offset1:168
	ds_read2_b32 v[14:15], v10 offset0:73 offset1:190
	ds_read2_b32 v[44:45], v9 offset0:29 offset1:146
	s_waitcnt lgkmcnt(0)
	s_barrier
	ds_write2_b32 v51, v27, v18 offset1:2
	v_sub_f32_e32 v18, v11, v19
	v_fma_f32 v11, v11, 2.0, -v18
	ds_write2_b32 v25, v11, v18 offset1:2
	v_sub_f32_e32 v11, v22, v20
	v_fma_f32 v18, v22, 2.0, -v11
	ds_write2_b32 v30, v18, v11 offset1:2
	v_sub_f32_e32 v11, v29, v21
	v_fma_f32 v18, v29, 2.0, -v11
	ds_write2_b32 v48, v18, v11 offset1:2
	v_sub_f32_e32 v11, v47, v24
	v_fma_f32 v18, v47, 2.0, -v11
	ds_write2_b32 v23, v18, v11 offset1:2
	v_sub_f32_e32 v11, v46, v28
	v_fma_f32 v18, v46, 2.0, -v11
	ds_write2_b32 v26, v18, v11 offset1:2
	v_lshlrev_b32_e32 v11, 4, v64
	s_waitcnt lgkmcnt(0)
	s_barrier
	global_load_dwordx4 v[18:21], v11, s[8:9] offset:16
	v_lshlrev_b32_e32 v11, 4, v65
	global_load_dwordx4 v[24:27], v11, s[8:9] offset:16
	v_lshlrev_b32_e32 v11, 4, v66
	;; [unrolled: 2-line block ×3, first 2 shown]
	global_load_dwordx4 v[54:57], v11, s[8:9] offset:16
	ds_read2_b32 v[46:47], v10 offset0:73 offset1:190
	ds_read2_b32 v[48:49], v9 offset0:29 offset1:146
	s_movk_i32 s0, 0x6c
	v_cmp_gt_u32_e64 s[0:1], s0, v31
	s_waitcnt vmcnt(3) lgkmcnt(1)
	v_mul_f32_e32 v11, v46, v19
	v_fma_f32 v22, v14, v18, -v11
	s_waitcnt lgkmcnt(0)
	v_mul_f32_e32 v11, v48, v21
	v_fma_f32 v29, v44, v20, -v11
	s_waitcnt vmcnt(2)
	v_mul_f32_e32 v11, v47, v25
	v_mul_f32_e32 v23, v14, v19
	v_fma_f32 v19, v15, v24, -v11
	v_mul_f32_e32 v11, v49, v27
	v_fmac_f32_e32 v23, v46, v18
	v_mul_f32_e32 v46, v44, v21
	v_fma_f32 v44, v45, v26, -v11
	ds_read_b32 v11, v61
	v_fmac_f32_e32 v46, v48, v20
	v_mul_f32_e32 v30, v15, v25
	ds_read2_b32 v[14:15], v3 offset0:51 offset1:168
	ds_read_b32 v20, v60
	v_mul_f32_e32 v45, v45, v27
	v_fmac_f32_e32 v45, v49, v26
	s_waitcnt vmcnt(1)
	v_mul_f32_e32 v49, v62, v51
	s_waitcnt lgkmcnt(2)
	v_mul_f32_e32 v18, v11, v51
	v_fmac_f32_e32 v49, v11, v50
	s_waitcnt lgkmcnt(1)
	v_mul_f32_e32 v11, v15, v53
	v_fma_f32 v26, v62, v50, -v18
	v_fma_f32 v50, v8, v52, -v11
	v_mul_f32_e32 v51, v8, v53
	s_waitcnt vmcnt(0)
	v_mul_f32_e32 v8, v14, v55
	v_fmac_f32_e32 v30, v47, v24
	v_fma_f32 v47, v7, v54, -v8
	v_mul_f32_e32 v48, v7, v55
	ds_read_b32 v7, v33 offset:5148
	v_fmac_f32_e32 v51, v15, v52
	v_mul_f32_e32 v53, v63, v57
	v_sub_f32_e32 v11, v49, v51
	v_fmac_f32_e32 v48, v14, v54
	s_waitcnt lgkmcnt(0)
	v_mul_f32_e32 v8, v7, v57
	v_fma_f32 v52, v63, v56, -v8
	v_add_f32_e32 v8, v26, v50
	v_fmac_f32_e32 v53, v7, v56
	v_add_f32_e32 v7, v17, v26
	v_fmac_f32_e32 v17, -0.5, v8
	v_mov_b32_e32 v8, v17
	v_fmac_f32_e32 v8, 0x3f5db3d7, v11
	v_fmac_f32_e32 v17, 0xbf5db3d7, v11
	v_add_f32_e32 v11, v16, v22
	v_add_f32_e32 v18, v11, v29
	;; [unrolled: 1-line block ×3, first 2 shown]
	v_fmac_f32_e32 v16, -0.5, v11
	v_mov_b32_e32 v15, v16
	v_sub_f32_e32 v11, v23, v46
	v_add_f32_e32 v14, v19, v44
	v_fmac_f32_e32 v15, 0x3f5db3d7, v11
	v_fmac_f32_e32 v16, 0xbf5db3d7, v11
	v_add_f32_e32 v11, v13, v19
	v_fmac_f32_e32 v13, -0.5, v14
	v_add_f32_e32 v27, v11, v44
	v_mov_b32_e32 v28, v13
	v_sub_f32_e32 v11, v30, v45
	v_fmac_f32_e32 v28, 0x3f5db3d7, v11
	v_fmac_f32_e32 v13, 0xbf5db3d7, v11
	v_add_f32_e32 v11, v12, v47
	v_add_f32_e32 v14, v11, v52
	;; [unrolled: 1-line block ×3, first 2 shown]
	v_lshrrev_b32_e32 v55, 2, v32
	v_lshrrev_b32_e32 v56, 2, v34
	v_lshrrev_b32_e32 v57, 2, v35
	ds_read_b32 v21, v59
	ds_read_b32 v24, v58
	;; [unrolled: 1-line block ×3, first 2 shown]
	v_fmac_f32_e32 v12, -0.5, v11
	v_mul_lo_u32 v55, v55, 12
	v_mul_lo_u32 v56, v56, 12
	;; [unrolled: 1-line block ×3, first 2 shown]
	v_mov_b32_e32 v11, v12
	v_sub_f32_e32 v54, v48, v53
	v_fmac_f32_e32 v11, 0x3f5db3d7, v54
	v_fmac_f32_e32 v12, 0xbf5db3d7, v54
	v_lshrrev_b32_e32 v54, 2, v31
	v_mul_u32_u24_e32 v54, 12, v54
	v_or_b32_e32 v54, v54, v66
	v_or_b32_e32 v55, v55, v64
	;; [unrolled: 1-line block ×4, first 2 shown]
	v_add_f32_e32 v7, v7, v50
	v_lshl_add_u32 v54, v54, 2, 0
	v_lshl_add_u32 v55, v55, 2, 0
	;; [unrolled: 1-line block ×4, first 2 shown]
	s_waitcnt lgkmcnt(0)
	s_barrier
	ds_write2_b32 v54, v7, v8 offset1:4
	ds_write_b32 v54, v17 offset:32
	ds_write2_b32 v55, v18, v15 offset1:4
	ds_write_b32 v55, v16 offset:32
	;; [unrolled: 2-line block ×4, first 2 shown]
	s_waitcnt lgkmcnt(0)
	s_barrier
	s_waitcnt lgkmcnt(0)
                                        ; implicit-def: $vgpr59
	s_and_saveexec_b64 s[4:5], s[0:1]
	s_cbranch_execz .LBB0_15
; %bb.14:
	v_add_u32_e32 v11, 0x200, v33
	ds_read2_b32 v[17:18], v11 offset0:88 offset1:196
	v_add_u32_e32 v11, 0x600, v33
	ds_read2_b32 v[7:8], v33 offset1:108
	ds_read2_b32 v[15:16], v11 offset0:48 offset1:156
	ds_read2_b32 v[27:28], v10 offset0:136 offset1:244
	;; [unrolled: 1-line block ×4, first 2 shown]
	ds_read_b32 v59, v33 offset:5184
.LBB0_15:
	s_or_b64 exec, exec, s[4:5]
	v_add_f32_e32 v3, v25, v49
	v_add_f32_e32 v9, v3, v51
	v_add_f32_e32 v3, v49, v51
	v_fmac_f32_e32 v25, -0.5, v3
	v_sub_f32_e32 v3, v26, v50
	v_mov_b32_e32 v10, v25
	v_fmac_f32_e32 v10, 0xbf5db3d7, v3
	v_fmac_f32_e32 v25, 0x3f5db3d7, v3
	v_add_f32_e32 v3, v24, v23
	v_add_f32_e32 v26, v3, v46
	v_add_f32_e32 v3, v23, v46
	v_fmac_f32_e32 v24, -0.5, v3
	v_sub_f32_e32 v3, v22, v29
	v_mov_b32_e32 v23, v24
	v_fmac_f32_e32 v23, 0xbf5db3d7, v3
	v_fmac_f32_e32 v24, 0x3f5db3d7, v3
	;; [unrolled: 8-line block ×4, first 2 shown]
	s_waitcnt lgkmcnt(0)
	s_barrier
	ds_write2_b32 v54, v9, v10 offset1:4
	ds_write_b32 v54, v25 offset:32
	ds_write2_b32 v55, v26, v23 offset1:4
	ds_write_b32 v55, v24 offset:32
	ds_write2_b32 v56, v29, v30 offset1:4
	ds_write_b32 v56, v21 offset:32
	ds_write2_b32 v57, v22, v19 offset1:4
	ds_write_b32 v57, v20 offset:32
	s_waitcnt lgkmcnt(0)
	s_barrier
	s_waitcnt lgkmcnt(0)
                                        ; implicit-def: $vgpr64
	s_and_saveexec_b64 s[4:5], s[0:1]
	s_cbranch_execz .LBB0_17
; %bb.16:
	v_add_u32_e32 v3, 0x200, v33
	ds_read2_b32 v[25:26], v3 offset0:88 offset1:196
	v_add_u32_e32 v3, 0x600, v33
	ds_read2_b32 v[23:24], v3 offset0:48 offset1:156
	;; [unrolled: 2-line block ×4, first 2 shown]
	v_add_u32_e32 v3, 0x1000, v33
	ds_read2_b32 v[9:10], v33 offset1:108
	ds_read2_b32 v[19:20], v3 offset0:56 offset1:164
	ds_read_b32 v64, v33 offset:5184
.LBB0_17:
	s_or_b64 exec, exec, s[4:5]
	s_movk_i32 s4, 0xab
	v_mul_lo_u16_sdwa v3, v31, s4 dst_sel:DWORD dst_unused:UNUSED_PAD src0_sel:BYTE_0 src1_sel:DWORD
	v_lshrrev_b16_e32 v3, 11, v3
	v_mul_lo_u16_e32 v44, 12, v3
	v_sub_u16_e32 v44, v31, v44
	v_mov_b32_e32 v45, 12
	v_mul_u32_u24_sdwa v45, v44, v45 dst_sel:DWORD dst_unused:UNUSED_PAD src0_sel:BYTE_0 src1_sel:DWORD
	v_lshlrev_b32_e32 v45, 3, v45
	global_load_dwordx4 v[65:68], v45, s[8:9] offset:80
	global_load_dwordx4 v[69:72], v45, s[8:9] offset:96
	;; [unrolled: 1-line block ×6, first 2 shown]
	v_sub_u32_e32 v60, 0, v40
	v_sub_u32_e32 v58, 0, v41
	;; [unrolled: 1-line block ×4, first 2 shown]
	s_waitcnt vmcnt(0) lgkmcnt(0)
	s_barrier
	v_mul_f32_e32 v46, v10, v66
	v_mul_f32_e32 v55, v8, v66
	;; [unrolled: 1-line block ×24, first 2 shown]
	v_fma_f32 v62, v8, v65, -v46
	v_fmac_f32_e32 v55, v10, v65
	v_fma_f32 v54, v17, v67, -v49
	v_fmac_f32_e32 v51, v25, v67
	;; [unrolled: 2-line block ×12, first 2 shown]
	s_and_saveexec_b64 s[4:5], s[0:1]
	s_cbranch_execz .LBB0_19
; %bb.18:
	v_sub_f32_e32 v10, v55, v63
	v_mul_f32_e32 v11, 0xbe750f2a, v10
	v_sub_f32_e32 v16, v51, v53
	v_add_f32_e32 v8, v62, v59
	v_mov_b32_e32 v12, v11
	v_mul_f32_e32 v17, 0x3eedf032, v16
	v_fmac_f32_e32 v12, 0xbf788fa5, v8
	v_add_f32_e32 v13, v54, v56
	v_mov_b32_e32 v18, v17
	v_sub_f32_e32 v19, v48, v50
	v_add_f32_e32 v12, v7, v12
	v_fmac_f32_e32 v18, 0x3f62ad3f, v13
	v_mul_f32_e32 v20, 0xbf29c268, v19
	v_add_f32_e32 v12, v18, v12
	v_add_f32_e32 v18, v52, v30
	v_mov_b32_e32 v21, v20
	v_sub_f32_e32 v22, v45, v47
	s_mov_b32 s6, 0xbf788fa5
	v_fmac_f32_e32 v21, 0xbf3f9e67, v18
	v_mul_f32_e32 v24, 0x3f52af12, v22
	s_mov_b32 s10, 0x3f62ad3f
	v_add_f32_e32 v12, v21, v12
	v_add_f32_e32 v21, v49, v14
	v_mov_b32_e32 v25, v24
	v_sub_f32_e32 v26, v42, v43
	v_fma_f32 v11, v8, s6, -v11
	s_mov_b32 s7, 0xbf3f9e67
	v_fmac_f32_e32 v25, 0x3f116cb1, v21
	v_mul_f32_e32 v27, 0xbf6f5d39, v26
	v_add_f32_e32 v11, v7, v11
	v_fma_f32 v17, v13, s10, -v17
	s_mov_b32 s11, 0x3f116cb1
	v_add_f32_e32 v12, v25, v12
	v_add_f32_e32 v25, v46, v28
	v_mov_b32_e32 v29, v27
	v_add_f32_e32 v11, v17, v11
	v_fma_f32 v17, v18, s7, -v20
	s_mov_b32 s14, 0xbeb58ec6
	v_fmac_f32_e32 v29, 0xbeb58ec6, v25
	v_sub_f32_e32 v64, v40, v41
	v_add_f32_e32 v11, v17, v11
	v_fma_f32 v17, v21, s11, -v24
	v_add_f32_e32 v12, v29, v12
	v_add_f32_e32 v29, v15, v23
	v_mul_f32_e32 v65, 0x3f7e222b, v64
	s_mov_b32 s15, 0x3df6dbef
	v_add_f32_e32 v11, v17, v11
	v_fma_f32 v17, v25, s14, -v27
	v_add_f32_e32 v11, v17, v11
	v_fma_f32 v17, v29, s15, -v65
	v_add_f32_e32 v11, v17, v11
	v_mul_f32_e32 v17, 0xbf29c268, v10
	v_mov_b32_e32 v20, v17
	v_mul_f32_e32 v24, 0x3f7e222b, v16
	v_fmac_f32_e32 v20, 0xbf3f9e67, v8
	v_mov_b32_e32 v27, v24
	v_add_f32_e32 v20, v7, v20
	v_fmac_f32_e32 v27, 0x3df6dbef, v13
	v_add_f32_e32 v20, v27, v20
	v_mul_f32_e32 v27, 0xbf52af12, v19
	v_mov_b32_e32 v66, v65
	v_mov_b32_e32 v65, v27
	v_fmac_f32_e32 v65, 0x3f116cb1, v18
	v_fmac_f32_e32 v66, 0x3df6dbef, v29
	v_add_f32_e32 v20, v65, v20
	v_mul_f32_e32 v65, 0x3e750f2a, v22
	v_add_f32_e32 v12, v66, v12
	v_mov_b32_e32 v66, v65
	v_fmac_f32_e32 v66, 0xbf788fa5, v21
	v_fma_f32 v17, v8, s7, -v17
	v_add_f32_e32 v20, v66, v20
	v_mul_f32_e32 v66, 0x3eedf032, v26
	v_add_f32_e32 v17, v7, v17
	v_fma_f32 v24, v13, s15, -v24
	v_mov_b32_e32 v67, v66
	v_add_f32_e32 v17, v24, v17
	v_fma_f32 v24, v18, s11, -v27
	v_fmac_f32_e32 v67, 0x3f62ad3f, v25
	v_add_f32_e32 v17, v24, v17
	v_fma_f32 v24, v21, s6, -v65
	v_add_f32_e32 v20, v67, v20
	v_mul_f32_e32 v67, 0xbf6f5d39, v64
	v_add_f32_e32 v17, v24, v17
	v_fma_f32 v24, v25, s10, -v66
	v_add_f32_e32 v17, v24, v17
	v_fma_f32 v24, v29, s14, -v67
	v_add_f32_e32 v17, v24, v17
	v_mul_f32_e32 v24, 0xbf6f5d39, v10
	v_mov_b32_e32 v27, v24
	v_mul_f32_e32 v65, 0x3f29c268, v16
	v_fmac_f32_e32 v27, 0xbeb58ec6, v8
	v_mov_b32_e32 v66, v65
	v_add_f32_e32 v27, v7, v27
	v_fmac_f32_e32 v66, 0xbf3f9e67, v13
	v_add_f32_e32 v27, v66, v27
	v_mul_f32_e32 v66, 0x3eedf032, v19
	v_mov_b32_e32 v68, v67
	v_mov_b32_e32 v67, v66
	v_fmac_f32_e32 v67, 0x3f62ad3f, v18
	v_fmac_f32_e32 v68, 0xbeb58ec6, v29
	v_add_f32_e32 v27, v67, v27
	v_mul_f32_e32 v67, 0xbf7e222b, v22
	v_add_f32_e32 v20, v68, v20
	v_mov_b32_e32 v68, v67
	v_fmac_f32_e32 v68, 0x3df6dbef, v21
	v_fma_f32 v24, v8, s14, -v24
	v_add_f32_e32 v27, v68, v27
	v_mul_f32_e32 v68, 0x3e750f2a, v26
	v_add_f32_e32 v24, v7, v24
	v_fma_f32 v65, v13, s7, -v65
	v_mov_b32_e32 v69, v68
	v_add_f32_e32 v24, v65, v24
	v_fma_f32 v65, v18, s10, -v66
	v_fmac_f32_e32 v69, 0xbf788fa5, v25
	v_add_f32_e32 v24, v65, v24
	v_fma_f32 v65, v21, s15, -v67
	v_add_f32_e32 v27, v69, v27
	v_mul_f32_e32 v69, 0x3f52af12, v64
	;; [unrolled: 36-line block ×4, first 2 shown]
	v_add_f32_e32 v67, v69, v67
	v_fma_f32 v69, v25, s15, -v72
	v_add_f32_e32 v67, v69, v67
	v_fma_f32 v69, v29, s10, -v73
	v_mul_f32_e32 v10, 0xbeedf032, v10
	v_add_f32_e32 v67, v69, v67
	v_mov_b32_e32 v69, v10
	v_fmac_f32_e32 v69, 0x3f62ad3f, v8
	v_fma_f32 v8, v8, s10, -v10
	v_add_f32_e32 v69, v7, v69
	v_add_f32_e32 v8, v7, v8
	;; [unrolled: 1-line block ×3, first 2 shown]
	v_mul_f32_e32 v16, 0xbf52af12, v16
	v_add_f32_e32 v7, v7, v54
	v_mov_b32_e32 v70, v16
	v_add_f32_e32 v7, v7, v52
	v_fmac_f32_e32 v70, 0x3f116cb1, v13
	v_mul_f32_e32 v19, 0xbf7e222b, v19
	v_add_f32_e32 v7, v7, v49
	v_add_f32_e32 v69, v70, v69
	v_mov_b32_e32 v70, v19
	v_add_f32_e32 v7, v7, v46
	v_fmac_f32_e32 v70, 0x3df6dbef, v18
	v_mul_f32_e32 v22, 0xbf6f5d39, v22
	v_fma_f32 v10, v13, s11, -v16
	v_add_f32_e32 v7, v7, v15
	v_add_f32_e32 v69, v70, v69
	v_mov_b32_e32 v70, v22
	v_add_f32_e32 v8, v10, v8
	v_fma_f32 v10, v18, s15, -v19
	v_add_f32_e32 v7, v7, v23
	v_fmac_f32_e32 v70, 0xbeb58ec6, v21
	v_mul_f32_e32 v26, 0xbf29c268, v26
	v_add_f32_e32 v8, v10, v8
	v_fma_f32 v10, v21, s14, -v22
	v_add_f32_e32 v7, v7, v28
	v_add_f32_e32 v69, v70, v69
	v_mov_b32_e32 v70, v26
	v_mul_f32_e32 v64, 0xbe750f2a, v64
	v_add_f32_e32 v8, v10, v8
	v_fma_f32 v10, v25, s7, -v26
	v_add_f32_e32 v7, v7, v14
	v_fmac_f32_e32 v70, 0xbf3f9e67, v25
	v_add_f32_e32 v8, v10, v8
	v_fma_f32 v10, v29, s6, -v64
	v_add_f32_e32 v7, v7, v30
	v_mov_b32_e32 v13, 2
	v_mov_b32_e32 v74, v73
	v_add_f32_e32 v69, v70, v69
	v_mov_b32_e32 v70, v64
	v_add_f32_e32 v8, v10, v8
	v_add_f32_e32 v7, v7, v56
	v_mul_u32_u24_e32 v10, 0x270, v3
	v_lshlrev_b32_sdwa v13, v13, v44 dst_sel:DWORD dst_unused:UNUSED_PAD src0_sel:DWORD src1_sel:BYTE_0
	v_fmac_f32_e32 v74, 0x3f62ad3f, v29
	v_fmac_f32_e32 v70, 0xbf788fa5, v29
	v_add_f32_e32 v7, v7, v59
	v_add3_u32 v10, 0, v10, v13
	v_add_f32_e32 v68, v74, v68
	v_add_f32_e32 v69, v70, v69
	ds_write2_b32 v10, v7, v8 offset1:12
	ds_write2_b32 v10, v67, v65 offset0:24 offset1:36
	ds_write2_b32 v10, v24, v17 offset0:48 offset1:60
	;; [unrolled: 1-line block ×5, first 2 shown]
	ds_write_b32 v10, v69 offset:576
.LBB0_19:
	s_or_b64 exec, exec, s[4:5]
	v_add_u32_e32 v20, 0xc00, v33
	v_add_u32_e32 v17, v37, v60
	;; [unrolled: 1-line block ×4, first 2 shown]
	s_waitcnt lgkmcnt(0)
	s_barrier
	ds_read_b32 v25, v33
	v_add_u32_e32 v16, v39, v61
	ds_read2_b32 v[7:8], v20 offset0:51 offset1:168
	ds_read2_b32 v[10:11], v21 offset0:73 offset1:190
	;; [unrolled: 1-line block ×3, first 2 shown]
	v_add_u32_e32 v18, v36, v58
	v_add_u32_e32 v19, v38, v57
	ds_read_b32 v27, v17
	ds_read_b32 v26, v18
	;; [unrolled: 1-line block ×4, first 2 shown]
	ds_read_b32 v29, v33 offset:5148
	s_waitcnt lgkmcnt(0)
	s_barrier
	s_and_saveexec_b64 s[4:5], s[0:1]
	s_cbranch_execz .LBB0_21
; %bb.20:
	v_add_f32_e32 v37, v9, v55
	v_add_f32_e32 v37, v37, v51
	;; [unrolled: 1-line block ×9, first 2 shown]
	v_sub_f32_e32 v39, v62, v59
	v_add_f32_e32 v37, v37, v50
	v_add_f32_e32 v38, v55, v63
	v_mul_f32_e32 v55, 0xbeedf032, v39
	v_mul_f32_e32 v58, 0xbf52af12, v39
	;; [unrolled: 1-line block ×6, first 2 shown]
	v_add_f32_e32 v37, v37, v53
	s_mov_b32 s6, 0x3f62ad3f
	s_mov_b32 s1, 0x3f116cb1
	;; [unrolled: 1-line block ×6, first 2 shown]
	v_mov_b32_e32 v66, v39
	v_add_f32_e32 v37, v37, v63
	v_fma_f32 v57, v38, s6, -v55
	v_fmac_f32_e32 v55, 0x3f62ad3f, v38
	v_fma_f32 v59, v38, s1, -v58
	v_fmac_f32_e32 v58, 0x3f116cb1, v38
	v_fma_f32 v61, v38, s0, -v60
	v_fmac_f32_e32 v60, 0x3df6dbef, v38
	v_fma_f32 v63, v38, s7, -v62
	v_fmac_f32_e32 v62, 0xbeb58ec6, v38
	v_fma_f32 v65, v38, s10, -v64
	v_fmac_f32_e32 v64, 0xbf3f9e67, v38
	v_fmac_f32_e32 v66, 0xbf788fa5, v38
	v_fma_f32 v38, v38, s11, -v39
	v_sub_f32_e32 v39, v54, v56
	v_add_f32_e32 v55, v9, v55
	v_add_f32_e32 v57, v9, v57
	v_add_f32_e32 v58, v9, v58
	v_add_f32_e32 v59, v9, v59
	v_add_f32_e32 v60, v9, v60
	v_add_f32_e32 v61, v9, v61
	v_add_f32_e32 v62, v9, v62
	v_add_f32_e32 v63, v9, v63
	v_add_f32_e32 v64, v9, v64
	v_add_f32_e32 v65, v9, v65
	v_add_f32_e32 v66, v9, v66
	v_add_f32_e32 v9, v9, v38
	v_add_f32_e32 v38, v51, v53
	v_mul_f32_e32 v51, 0xbf52af12, v39
	v_fma_f32 v53, v38, s1, -v51
	v_fmac_f32_e32 v51, 0x3f116cb1, v38
	v_mul_f32_e32 v54, 0xbf6f5d39, v39
	v_add_f32_e32 v51, v51, v55
	v_fma_f32 v55, v38, s7, -v54
	v_fmac_f32_e32 v54, 0xbeb58ec6, v38
	v_mul_f32_e32 v56, 0xbe750f2a, v39
	v_add_f32_e32 v53, v53, v57
	v_add_f32_e32 v54, v54, v58
	v_fma_f32 v57, v38, s11, -v56
	v_fmac_f32_e32 v56, 0xbf788fa5, v38
	v_mul_f32_e32 v58, 0x3f29c268, v39
	v_add_f32_e32 v55, v55, v59
	v_add_f32_e32 v56, v56, v60
	v_fma_f32 v59, v38, s10, -v58
	v_fmac_f32_e32 v58, 0xbf3f9e67, v38
	v_mul_f32_e32 v60, 0x3f7e222b, v39
	v_mul_f32_e32 v39, 0x3eedf032, v39
	v_add_f32_e32 v58, v58, v62
	v_mov_b32_e32 v62, v39
	v_add_f32_e32 v57, v57, v61
	v_fma_f32 v61, v38, s0, -v60
	v_fmac_f32_e32 v60, 0x3df6dbef, v38
	v_fmac_f32_e32 v62, 0x3f62ad3f, v38
	v_fma_f32 v38, v38, s6, -v39
	v_sub_f32_e32 v30, v52, v30
	v_add_f32_e32 v9, v38, v9
	v_add_f32_e32 v38, v48, v50
	v_mul_f32_e32 v39, 0xbf7e222b, v30
	v_fma_f32 v48, v38, s0, -v39
	v_fmac_f32_e32 v39, 0x3df6dbef, v38
	v_mul_f32_e32 v50, 0xbe750f2a, v30
	v_add_f32_e32 v39, v39, v51
	v_fma_f32 v51, v38, s11, -v50
	v_fmac_f32_e32 v50, 0xbf788fa5, v38
	v_mul_f32_e32 v52, 0x3f6f5d39, v30
	v_add_f32_e32 v48, v48, v53
	v_add_f32_e32 v50, v50, v54
	v_fma_f32 v53, v38, s7, -v52
	v_fmac_f32_e32 v52, 0xbeb58ec6, v38
	v_mul_f32_e32 v54, 0x3eedf032, v30
	v_add_f32_e32 v51, v51, v55
	v_add_f32_e32 v52, v52, v56
	v_fma_f32 v55, v38, s6, -v54
	v_fmac_f32_e32 v54, 0x3f62ad3f, v38
	v_mul_f32_e32 v56, 0xbf52af12, v30
	v_mul_f32_e32 v30, 0xbf29c268, v30
	v_add_f32_e32 v54, v54, v58
	v_mov_b32_e32 v58, v30
	v_fma_f32 v30, v38, s10, -v30
	v_sub_f32_e32 v14, v49, v14
	v_add_f32_e32 v53, v53, v57
	v_fma_f32 v57, v38, s1, -v56
	v_fmac_f32_e32 v56, 0x3f116cb1, v38
	v_fmac_f32_e32 v58, 0xbf3f9e67, v38
	v_add_f32_e32 v9, v30, v9
	v_add_f32_e32 v30, v45, v47
	v_mul_f32_e32 v38, 0xbf6f5d39, v14
	v_fma_f32 v45, v30, s7, -v38
	v_fmac_f32_e32 v38, 0xbeb58ec6, v30
	v_add_f32_e32 v38, v38, v39
	v_add_f32_e32 v39, v45, v48
	v_mul_f32_e32 v45, 0x3f29c268, v14
	v_fma_f32 v47, v30, s10, -v45
	v_fmac_f32_e32 v45, 0xbf3f9e67, v30
	v_mul_f32_e32 v48, 0x3eedf032, v14
	v_add_f32_e32 v45, v45, v50
	v_fma_f32 v49, v30, s6, -v48
	v_fmac_f32_e32 v48, 0x3f62ad3f, v30
	v_mul_f32_e32 v50, 0xbf7e222b, v14
	v_add_f32_e32 v47, v47, v51
	v_add_f32_e32 v48, v48, v52
	v_fma_f32 v51, v30, s0, -v50
	v_fmac_f32_e32 v50, 0x3df6dbef, v30
	v_mul_f32_e32 v52, 0x3e750f2a, v14
	v_mul_f32_e32 v14, 0x3f52af12, v14
	v_add_f32_e32 v50, v50, v54
	v_mov_b32_e32 v54, v14
	v_fma_f32 v14, v30, s1, -v14
	v_sub_f32_e32 v28, v46, v28
	v_add_f32_e32 v49, v49, v53
	v_fma_f32 v53, v30, s11, -v52
	v_fmac_f32_e32 v52, 0xbf788fa5, v30
	v_fmac_f32_e32 v54, 0x3f116cb1, v30
	v_add_f32_e32 v9, v14, v9
	v_add_f32_e32 v14, v42, v43
	v_mul_f32_e32 v30, 0xbf29c268, v28
	v_fma_f32 v42, v14, s10, -v30
	v_fmac_f32_e32 v30, 0xbf3f9e67, v14
	v_add_f32_e32 v30, v30, v38
	v_add_f32_e32 v38, v42, v39
	v_mul_f32_e32 v39, 0x3f7e222b, v28
	v_fma_f32 v42, v14, s0, -v39
	v_fmac_f32_e32 v39, 0x3df6dbef, v14
	v_mul_f32_e32 v43, 0xbf52af12, v28
	v_add_f32_e32 v39, v39, v45
	v_fma_f32 v45, v14, s1, -v43
	v_fmac_f32_e32 v43, 0x3f116cb1, v14
	v_mul_f32_e32 v46, 0x3e750f2a, v28
	v_add_f32_e32 v42, v42, v47
	v_add_f32_e32 v43, v43, v48
	v_fma_f32 v47, v14, s11, -v46
	v_fmac_f32_e32 v46, 0xbf788fa5, v14
	v_mul_f32_e32 v48, 0x3eedf032, v28
	v_mul_f32_e32 v28, 0xbf6f5d39, v28
	v_add_f32_e32 v46, v46, v50
	v_mov_b32_e32 v50, v28
	v_add_f32_e32 v45, v45, v49
	v_fma_f32 v49, v14, s6, -v48
	v_fmac_f32_e32 v48, 0x3f62ad3f, v14
	v_fmac_f32_e32 v50, 0xbeb58ec6, v14
	v_fma_f32 v14, v14, s7, -v28
	v_sub_f32_e32 v15, v15, v23
	v_add_f32_e32 v9, v14, v9
	v_add_f32_e32 v14, v40, v41
	v_mul_f32_e32 v23, 0xbe750f2a, v15
	v_fma_f32 v28, v14, s11, -v23
	v_fmac_f32_e32 v23, 0xbf788fa5, v14
	v_add_f32_e32 v23, v23, v30
	v_mul_f32_e32 v30, 0x3eedf032, v15
	v_add_f32_e32 v28, v28, v38
	v_fma_f32 v38, v14, s6, -v30
	v_fmac_f32_e32 v30, 0x3f62ad3f, v14
	v_add_f32_e32 v30, v30, v39
	v_mul_f32_e32 v39, 0xbf29c268, v15
	v_fma_f32 v40, v14, s10, -v39
	v_fmac_f32_e32 v39, 0xbf3f9e67, v14
	v_mul_f32_e32 v41, 0x3f52af12, v15
	v_add_f32_e32 v38, v38, v42
	v_add_f32_e32 v39, v39, v43
	v_fma_f32 v42, v14, s1, -v41
	v_fmac_f32_e32 v41, 0x3f116cb1, v14
	v_mul_f32_e32 v43, 0xbf6f5d39, v15
	v_mul_f32_e32 v15, 0x3f7e222b, v15
	v_add_f32_e32 v41, v41, v46
	v_mov_b32_e32 v46, v15
	v_add_f32_e32 v59, v59, v63
	v_add_f32_e32 v60, v60, v64
	;; [unrolled: 1-line block ×5, first 2 shown]
	v_fma_f32 v45, v14, s7, -v43
	v_fmac_f32_e32 v43, 0xbeb58ec6, v14
	v_fmac_f32_e32 v46, 0x3df6dbef, v14
	v_fma_f32 v14, v14, s0, -v15
	v_add_f32_e32 v55, v55, v59
	v_add_f32_e32 v56, v56, v60
	v_add_f32_e32 v57, v57, v61
	v_add_f32_e32 v58, v58, v62
	v_add_f32_e32 v9, v14, v9
	v_mov_b32_e32 v14, 2
	v_add_f32_e32 v51, v51, v55
	v_add_f32_e32 v52, v52, v56
	;; [unrolled: 1-line block ×4, first 2 shown]
	v_mul_u32_u24_e32 v3, 0x270, v3
	v_lshlrev_b32_sdwa v14, v14, v44 dst_sel:DWORD dst_unused:UNUSED_PAD src0_sel:DWORD src1_sel:BYTE_0
	v_add_f32_e32 v47, v47, v51
	v_add_f32_e32 v48, v48, v52
	;; [unrolled: 1-line block ×4, first 2 shown]
	v_add3_u32 v3, 0, v3, v14
	v_add_f32_e32 v42, v42, v47
	v_add_f32_e32 v43, v43, v48
	;; [unrolled: 1-line block ×4, first 2 shown]
	ds_write2_b32 v3, v37, v23 offset1:12
	ds_write2_b32 v3, v30, v39 offset0:24 offset1:36
	ds_write2_b32 v3, v41, v43 offset0:48 offset1:60
	ds_write2_b32 v3, v46, v9 offset0:72 offset1:84
	ds_write2_b32 v3, v45, v42 offset0:96 offset1:108
	ds_write2_b32 v3, v40, v38 offset0:120 offset1:132
	ds_write_b32 v3, v28 offset:576
.LBB0_21:
	s_or_b64 exec, exec, s[4:5]
	v_mov_b32_e32 v3, 0
	v_lshlrev_b64 v[14:15], 3, v[2:3]
	v_mov_b32_e32 v9, s9
	v_add_co_u32_e64 v14, s[0:1], s8, v14
	v_addc_co_u32_e64 v15, s[0:1], v9, v15, s[0:1]
	v_subrev_u32_e32 v2, 39, v31
	v_cmp_gt_u32_e64 s[0:1], 39, v31
	v_cndmask_b32_e64 v23, v2, v32, s[0:1]
	v_lshlrev_b32_e32 v2, 1, v23
	v_lshlrev_b64 v[41:42], 3, v[2:3]
	v_lshrrev_b16_e32 v2, 2, v34
	v_mul_u32_u24_e32 v2, 0xd21, v2
	s_waitcnt lgkmcnt(0)
	s_barrier
	global_load_dwordx4 v[37:40], v[14:15], off offset:1232
	v_add_co_u32_e64 v49, s[0:1], s8, v41
	v_lshrrev_b32_e32 v2, 17, v2
	v_addc_co_u32_e64 v50, s[0:1], v9, v42, s[0:1]
	v_mul_lo_u16_e32 v9, 0x9c, v2
	v_sub_u16_e32 v9, v34, v9
	v_lshlrev_b32_e32 v28, 4, v9
	global_load_dwordx4 v[41:44], v[49:50], off offset:1232
	global_load_dwordx4 v[45:48], v28, s[8:9] offset:1232
	v_lshrrev_b16_e32 v28, 2, v35
	v_mul_u32_u24_e32 v28, 0xd21, v28
	v_lshrrev_b32_e32 v28, 17, v28
	v_mul_lo_u16_e32 v28, 0x9c, v28
	v_sub_u16_e32 v28, v35, v28
	v_lshlrev_b32_e32 v30, 4, v28
	global_load_dwordx4 v[49:52], v30, s[8:9] offset:1232
	ds_read2_b32 v[34:35], v20 offset0:51 offset1:168
	ds_read2_b32 v[53:54], v21 offset0:73 offset1:190
	;; [unrolled: 1-line block ×3, first 2 shown]
	ds_read_b32 v30, v16
	ds_read_b32 v32, v17
	;; [unrolled: 1-line block ×5, first 2 shown]
	ds_read_b32 v60, v33 offset:5148
	v_cmp_lt_u32_e64 s[0:1], 38, v31
	s_waitcnt vmcnt(0) lgkmcnt(0)
	s_barrier
	v_mul_u32_u24_e32 v2, 0x750, v2
	v_mul_f32_e32 v61, v30, v38
	v_mul_f32_e32 v38, v36, v38
	;; [unrolled: 1-line block ×4, first 2 shown]
	v_fmac_f32_e32 v38, v30, v37
	v_fmac_f32_e32 v40, v35, v39
	v_fma_f32 v36, v36, v37, -v61
	v_sub_f32_e32 v65, v38, v40
	v_mul_f32_e32 v30, v53, v42
	v_mul_f32_e32 v37, v55, v44
	v_add_f32_e32 v66, v59, v38
	v_add_f32_e32 v38, v38, v40
	v_fma_f32 v8, v8, v39, -v62
	v_mul_f32_e32 v35, v10, v42
	v_mul_f32_e32 v39, v12, v44
	v_fma_f32 v10, v10, v41, -v30
	v_fma_f32 v12, v12, v43, -v37
	v_fmac_f32_e32 v59, -0.5, v38
	v_add_f32_e32 v63, v25, v36
	v_add_f32_e32 v64, v36, v8
	v_sub_f32_e32 v36, v36, v8
	v_mov_b32_e32 v37, v59
	v_add_f32_e32 v38, v10, v12
	v_fmac_f32_e32 v35, v53, v41
	v_fmac_f32_e32 v39, v55, v43
	;; [unrolled: 1-line block ×4, first 2 shown]
	v_add_f32_e32 v36, v27, v10
	v_fmac_f32_e32 v27, -0.5, v38
	v_add_f32_e32 v30, v66, v40
	v_sub_f32_e32 v38, v35, v39
	v_mov_b32_e32 v40, v27
	v_mul_f32_e32 v42, v54, v46
	v_mul_f32_e32 v44, v11, v46
	;; [unrolled: 1-line block ×3, first 2 shown]
	v_fmac_f32_e32 v40, 0x3f5db3d7, v38
	v_fmac_f32_e32 v27, 0xbf5db3d7, v38
	v_add_f32_e32 v38, v32, v35
	v_add_f32_e32 v35, v35, v39
	v_mul_f32_e32 v48, v13, v48
	v_fma_f32 v11, v11, v45, -v42
	v_fma_f32 v13, v13, v47, -v46
	v_fmac_f32_e32 v32, -0.5, v35
	v_add_f32_e32 v36, v36, v12
	v_sub_f32_e32 v10, v10, v12
	v_mov_b32_e32 v35, v32
	v_add_f32_e32 v12, v11, v13
	v_fmac_f32_e32 v44, v54, v45
	v_fmac_f32_e32 v48, v56, v47
	;; [unrolled: 1-line block ×4, first 2 shown]
	v_add_f32_e32 v10, v26, v11
	v_fmac_f32_e32 v26, -0.5, v12
	v_add_f32_e32 v38, v38, v39
	v_sub_f32_e32 v12, v44, v48
	v_mov_b32_e32 v39, v26
	v_fmac_f32_e32 v39, 0x3f5db3d7, v12
	v_fmac_f32_e32 v26, 0xbf5db3d7, v12
	v_add_f32_e32 v12, v57, v44
	v_mul_f32_e32 v61, v34, v50
	v_mul_f32_e32 v62, v60, v52
	v_add_f32_e32 v41, v12, v48
	v_add_f32_e32 v12, v44, v48
	v_mul_f32_e32 v50, v7, v50
	v_mul_f32_e32 v52, v29, v52
	v_fma_f32 v7, v7, v49, -v61
	v_fma_f32 v29, v29, v51, -v62
	v_fmac_f32_e32 v57, -0.5, v12
	v_sub_f32_e32 v11, v11, v13
	v_mov_b32_e32 v42, v57
	v_add_f32_e32 v12, v7, v29
	v_fmac_f32_e32 v50, v34, v49
	v_fmac_f32_e32 v52, v60, v51
	;; [unrolled: 1-line block ×4, first 2 shown]
	v_add_f32_e32 v11, v24, v7
	v_fmac_f32_e32 v24, -0.5, v12
	v_add_f32_e32 v10, v10, v13
	v_sub_f32_e32 v12, v50, v52
	v_mov_b32_e32 v13, v24
	v_fmac_f32_e32 v13, 0x3f5db3d7, v12
	v_fmac_f32_e32 v24, 0xbf5db3d7, v12
	v_add_f32_e32 v12, v58, v50
	v_add_f32_e32 v43, v12, v52
	;; [unrolled: 1-line block ×3, first 2 shown]
	v_fmac_f32_e32 v25, -0.5, v64
	v_fmac_f32_e32 v58, -0.5, v12
	v_mov_b32_e32 v34, v25
	v_add_f32_e32 v11, v11, v29
	v_sub_f32_e32 v7, v7, v29
	v_mov_b32_e32 v29, v58
	v_add_f32_e32 v8, v63, v8
	v_fmac_f32_e32 v34, 0x3f5db3d7, v65
	v_fmac_f32_e32 v29, 0xbf5db3d7, v7
	;; [unrolled: 1-line block ×3, first 2 shown]
	v_mov_b32_e32 v7, 0x750
	v_fmac_f32_e32 v25, 0xbf5db3d7, v65
	ds_write2_b32 v33, v8, v34 offset1:156
	ds_write_b32 v33, v25 offset:1248
	v_cndmask_b32_e64 v7, 0, v7, s[0:1]
	v_lshlrev_b32_e32 v8, 2, v23
	v_add3_u32 v7, 0, v7, v8
	v_lshlrev_b32_e32 v8, 2, v9
	v_add3_u32 v25, 0, v2, v8
	ds_write2_b32 v7, v36, v40 offset1:156
	ds_write_b32 v7, v27 offset:1248
	ds_write2_b32 v25, v10, v39 offset1:156
	ds_write_b32 v25, v26 offset:1248
	v_lshl_add_u32 v26, v28, 2, 0
	v_add_u32_e32 v27, 0xe00, v26
	ds_write2_b32 v27, v11, v13 offset0:40 offset1:196
	ds_write_b32 v26, v24 offset:4992
	s_waitcnt lgkmcnt(0)
	s_barrier
	ds_read_b32 v2, v33
	ds_read2_b32 v[8:9], v20 offset0:51 offset1:168
	ds_read2_b32 v[10:11], v21 offset0:73 offset1:190
	;; [unrolled: 1-line block ×3, first 2 shown]
	ds_read_b32 v21, v17
	ds_read_b32 v22, v18
	;; [unrolled: 1-line block ×4, first 2 shown]
	ds_read_b32 v24, v33 offset:5148
	s_waitcnt lgkmcnt(0)
	s_barrier
	ds_write2_b32 v33, v30, v37 offset1:156
	ds_write_b32 v33, v59 offset:1248
	ds_write2_b32 v7, v38, v35 offset1:156
	ds_write_b32 v7, v32 offset:1248
	;; [unrolled: 2-line block ×3, first 2 shown]
	ds_write2_b32 v27, v43, v29 offset0:40 offset1:196
	ds_write_b32 v26, v58 offset:4992
	s_waitcnt lgkmcnt(0)
	s_barrier
	s_and_saveexec_b64 s[0:1], vcc
	s_cbranch_execz .LBB0_23
; %bb.22:
	v_mov_b32_e32 v7, v3
	v_lshlrev_b64 v[6:7], 3, v[6:7]
	v_mov_b32_e32 v32, s9
	v_add_co_u32_e32 v29, vcc, s8, v6
	v_mov_b32_e32 v6, v3
	v_lshlrev_b64 v[5:6], 3, v[5:6]
	v_addc_co_u32_e32 v30, vcc, v32, v7, vcc
	v_add_co_u32_e32 v5, vcc, s8, v5
	v_addc_co_u32_e32 v6, vcc, v32, v6, vcc
	global_load_dwordx4 v[25:28], v[29:30], off offset:3728
	global_load_dwordx4 v[34:37], v[5:6], off offset:3728
	v_mov_b32_e32 v5, v3
	v_lshlrev_b64 v[3:4], 3, v[4:5]
	global_load_dwordx4 v[38:41], v[14:15], off offset:3728
	v_add_co_u32_e32 v3, vcc, s8, v3
	v_addc_co_u32_e32 v4, vcc, v32, v4, vcc
	global_load_dwordx4 v[3:6], v[3:4], off offset:3728
	v_add_u32_e32 v29, 0x800, v33
	v_add_u32_e32 v32, 0x1000, v33
	;; [unrolled: 1-line block ×3, first 2 shown]
	ds_read_b32 v42, v33 offset:5148
	ds_read_b32 v43, v33
	ds_read2_b32 v[14:15], v7 offset0:51 offset1:168
	ds_read2_b32 v[29:30], v29 offset0:73 offset1:190
	;; [unrolled: 1-line block ×3, first 2 shown]
	s_mov_b32 s5, 0x46046047
	s_movk_i32 s4, 0x3a8
	s_waitcnt vmcnt(3)
	v_mul_f32_e32 v44, v24, v28
	s_waitcnt lgkmcnt(4)
	v_mul_f32_e32 v28, v42, v28
	s_waitcnt vmcnt(2) lgkmcnt(1)
	v_mul_f32_e32 v45, v30, v35
	v_mul_f32_e32 v35, v11, v35
	v_fmac_f32_e32 v35, v34, v30
	v_mul_f32_e32 v7, v8, v26
	v_mul_f32_e32 v26, v14, v26
	s_waitcnt lgkmcnt(0)
	v_mul_f32_e32 v46, v33, v37
	v_mul_f32_e32 v37, v13, v37
	s_waitcnt vmcnt(0)
	v_mul_f32_e32 v47, v29, v4
	v_mul_f32_e32 v48, v32, v6
	;; [unrolled: 1-line block ×4, first 2 shown]
	v_fma_f32 v6, v24, v27, -v28
	v_fma_f32 v28, v10, v3, -v47
	;; [unrolled: 1-line block ×3, first 2 shown]
	ds_read_b32 v10, v19
	ds_read_b32 v12, v18
	v_fmac_f32_e32 v49, v3, v29
	ds_read_b32 v29, v17
	v_fmac_f32_e32 v7, v14, v25
	v_fmac_f32_e32 v44, v42, v27
	v_fma_f32 v4, v8, v25, -v26
	v_fmac_f32_e32 v37, v36, v33
	v_fma_f32 v8, v11, v34, -v45
	v_add_f32_e32 v3, v7, v44
	v_add_f32_e32 v11, v4, v6
	;; [unrolled: 1-line block ×3, first 2 shown]
	v_fma_f32 v14, v13, v36, -v46
	v_sub_f32_e32 v19, v4, v6
	v_add_f32_e32 v13, v23, v4
	s_waitcnt lgkmcnt(2)
	v_fma_f32 v4, -0.5, v3, v10
	v_fma_f32 v3, -0.5, v11, v23
	s_waitcnt lgkmcnt(1)
	v_fma_f32 v11, -0.5, v18, v12
	v_fmac_f32_e32 v50, v5, v32
	v_sub_f32_e32 v25, v8, v14
	v_add_f32_e32 v26, v8, v14
	v_add_f32_e32 v17, v35, v12
	;; [unrolled: 1-line block ×3, first 2 shown]
	v_mov_b32_e32 v23, v11
	v_add_f32_e32 v5, v49, v50
	v_sub_f32_e32 v24, v7, v44
	v_add_f32_e32 v6, v13, v6
	v_add_f32_e32 v13, v37, v17
	;; [unrolled: 1-line block ×3, first 2 shown]
	v_mov_b32_e32 v17, v3
	v_fmac_f32_e32 v11, 0xbf5db3d7, v25
	v_fmac_f32_e32 v23, 0x3f5db3d7, v25
	ds_read_b32 v8, v16
	s_waitcnt lgkmcnt(1)
	v_fma_f32 v25, -0.5, v5, v29
	v_add_f32_e32 v5, v28, v30
	v_fmac_f32_e32 v3, 0xbf5db3d7, v24
	v_fmac_f32_e32 v17, 0x3f5db3d7, v24
	v_fma_f32 v24, -0.5, v5, v21
	v_add_f32_e32 v7, v10, v7
	v_fma_f32 v10, -0.5, v26, v22
	v_sub_f32_e32 v5, v49, v50
	v_mov_b32_e32 v26, v24
	v_fmac_f32_e32 v26, 0xbf5db3d7, v5
	v_fmac_f32_e32 v24, 0x3f5db3d7, v5
	v_add_f32_e32 v5, v49, v29
	v_add_f32_e32 v29, v50, v5
	;; [unrolled: 1-line block ×3, first 2 shown]
	v_sub_f32_e32 v33, v28, v30
	v_mov_b32_e32 v18, v4
	v_add_f32_e32 v28, v5, v30
	s_waitcnt lgkmcnt(0)
	v_mul_f32_e32 v5, v8, v39
	v_mul_f32_e32 v21, v20, v39
	;; [unrolled: 1-line block ×3, first 2 shown]
	v_fmac_f32_e32 v4, 0x3f5db3d7, v19
	v_fmac_f32_e32 v18, 0xbf5db3d7, v19
	v_fma_f32 v16, v20, v38, -v5
	v_mul_f32_e32 v5, v15, v41
	v_fmac_f32_e32 v21, v38, v8
	v_fmac_f32_e32 v32, v40, v15
	v_mad_u64_u32 v[19:20], s[0:1], s2, v31, 0
	v_fma_f32 v30, v9, v40, -v5
	v_add_f32_e32 v8, v21, v32
	v_sub_f32_e32 v27, v35, v37
	v_mov_b32_e32 v22, v10
	v_fma_f32 v9, -0.5, v8, v43
	v_add_f32_e32 v8, v16, v30
	v_fmac_f32_e32 v10, 0x3f5db3d7, v27
	v_fmac_f32_e32 v22, 0xbf5db3d7, v27
	v_mov_b32_e32 v27, v25
	v_sub_f32_e32 v5, v16, v30
	v_mov_b32_e32 v15, v9
	v_fma_f32 v8, -0.5, v8, v2
	v_fmac_f32_e32 v27, 0x3f5db3d7, v33
	v_fmac_f32_e32 v25, 0xbf5db3d7, v33
	;; [unrolled: 1-line block ×3, first 2 shown]
	v_sub_f32_e32 v33, v21, v32
	v_mov_b32_e32 v14, v8
	v_fmac_f32_e32 v9, 0xbf5db3d7, v5
	v_mov_b32_e32 v5, v20
	v_fmac_f32_e32 v14, 0xbf5db3d7, v33
	v_fmac_f32_e32 v8, 0x3f5db3d7, v33
	v_add_f32_e32 v33, v21, v43
	v_mad_u64_u32 v[20:21], s[0:1], s3, v31, v[5:6]
	v_add_f32_e32 v2, v2, v16
	v_add_f32_e32 v33, v32, v33
	;; [unrolled: 1-line block ×3, first 2 shown]
	v_mov_b32_e32 v2, s13
	v_add_co_u32_e32 v30, vcc, s12, v0
	v_add_u32_e32 v5, 0x1d4, v31
	v_addc_co_u32_e32 v36, vcc, v2, v1, vcc
	v_lshlrev_b64 v[0:1], 3, v[19:20]
	v_mad_u64_u32 v[19:20], s[0:1], s2, v5, 0
	v_add_co_u32_e32 v0, vcc, v30, v0
	v_mov_b32_e32 v2, v20
	v_mad_u64_u32 v[20:21], s[0:1], s3, v5, v[2:3]
	v_add_u32_e32 v5, 0x3a8, v31
	v_mad_u64_u32 v[34:35], s[0:1], s2, v5, 0
	v_addc_co_u32_e32 v1, vcc, v36, v1, vcc
	global_store_dwordx2 v[0:1], v[32:33], off
	v_lshlrev_b64 v[0:1], 3, v[19:20]
	v_mov_b32_e32 v2, v35
	v_add_co_u32_e32 v0, vcc, v30, v0
	v_mad_u64_u32 v[19:20], s[0:1], s3, v5, v[2:3]
	v_addc_co_u32_e32 v1, vcc, v36, v1, vcc
	v_add_u32_e32 v5, 0x75, v31
	global_store_dwordx2 v[0:1], v[8:9], off
	v_mad_u64_u32 v[8:9], s[0:1], s2, v5, 0
	v_mov_b32_e32 v35, v19
	v_lshlrev_b64 v[0:1], 3, v[34:35]
	v_mov_b32_e32 v2, v9
	v_mad_u64_u32 v[19:20], s[0:1], s3, v5, v[2:3]
	v_add_u32_e32 v5, 0x249, v31
	v_mad_u64_u32 v[20:21], s[0:1], s2, v5, 0
	v_add_co_u32_e32 v0, vcc, v30, v0
	v_addc_co_u32_e32 v1, vcc, v36, v1, vcc
	v_mov_b32_e32 v9, v19
	v_mov_b32_e32 v2, v21
	global_store_dwordx2 v[0:1], v[14:15], off
	v_lshlrev_b64 v[0:1], 3, v[8:9]
	v_mad_u64_u32 v[8:9], s[0:1], s3, v5, v[2:3]
	v_add_u32_e32 v5, 0x41d, v31
	v_add_co_u32_e32 v0, vcc, v30, v0
	v_mov_b32_e32 v21, v8
	v_mad_u64_u32 v[8:9], s[0:1], s2, v5, 0
	v_addc_co_u32_e32 v1, vcc, v36, v1, vcc
	v_mov_b32_e32 v2, v9
	v_mad_u64_u32 v[14:15], s[0:1], s3, v5, v[2:3]
	v_add_u32_e32 v2, 0xea, v31
	v_lshrrev_b32_e32 v5, 2, v2
	v_mul_hi_u32 v5, v5, s5
	global_store_dwordx2 v[0:1], v[28:29], off
	v_lshlrev_b64 v[0:1], 3, v[20:21]
	v_mov_b32_e32 v9, v14
	v_add_co_u32_e32 v0, vcc, v30, v0
	v_lshrrev_b32_e32 v5, 5, v5
	v_addc_co_u32_e32 v1, vcc, v36, v1, vcc
	v_mad_u32_u24 v5, v5, s4, v2
	global_store_dwordx2 v[0:1], v[24:25], off
	v_lshlrev_b64 v[0:1], 3, v[8:9]
	v_mad_u64_u32 v[8:9], s[0:1], s2, v5, 0
	v_add_u32_e32 v19, 0x1d4, v5
	v_add_co_u32_e32 v0, vcc, v30, v0
	v_mov_b32_e32 v2, v9
	v_mad_u64_u32 v[14:15], s[0:1], s3, v5, v[2:3]
	v_mad_u64_u32 v[15:16], s[0:1], s2, v19, 0
	v_addc_co_u32_e32 v1, vcc, v36, v1, vcc
	v_mov_b32_e32 v9, v14
	v_mov_b32_e32 v2, v16
	global_store_dwordx2 v[0:1], v[26:27], off
	v_lshlrev_b64 v[0:1], 3, v[8:9]
	v_mad_u64_u32 v[8:9], s[0:1], s3, v19, v[2:3]
	v_add_co_u32_e32 v0, vcc, v30, v0
	v_add_u32_e32 v5, 0x3a8, v5
	v_add_u32_e32 v14, 0x15f, v31
	v_addc_co_u32_e32 v1, vcc, v36, v1, vcc
	v_mov_b32_e32 v16, v8
	v_mad_u64_u32 v[8:9], s[0:1], s2, v5, 0
	v_lshrrev_b32_e32 v2, 2, v14
	global_store_dwordx2 v[0:1], v[12:13], off
	v_lshlrev_b64 v[0:1], 3, v[15:16]
	v_mul_hi_u32 v15, v2, s5
	v_mov_b32_e32 v2, v9
	v_mad_u64_u32 v[12:13], s[0:1], s3, v5, v[2:3]
	v_lshrrev_b32_e32 v2, 5, v15
	v_mad_u32_u24 v5, v2, s4, v14
	v_mad_u64_u32 v[13:14], s[0:1], s2, v5, 0
	v_add_co_u32_e32 v0, vcc, v30, v0
	v_addc_co_u32_e32 v1, vcc, v36, v1, vcc
	v_mov_b32_e32 v9, v12
	v_mov_b32_e32 v2, v14
	global_store_dwordx2 v[0:1], v[10:11], off
	v_lshlrev_b64 v[0:1], 3, v[8:9]
	v_mad_u64_u32 v[8:9], s[0:1], s3, v5, v[2:3]
	v_add_u32_e32 v10, 0x1d4, v5
	v_add_co_u32_e32 v0, vcc, v30, v0
	v_mov_b32_e32 v14, v8
	v_mad_u64_u32 v[8:9], s[0:1], s2, v10, 0
	v_add_u32_e32 v5, 0x3a8, v5
	v_addc_co_u32_e32 v1, vcc, v36, v1, vcc
	v_mov_b32_e32 v2, v9
	v_mad_u64_u32 v[9:10], s[0:1], s3, v10, v[2:3]
	v_mad_u64_u32 v[10:11], s[0:1], s2, v5, 0
	global_store_dwordx2 v[0:1], v[22:23], off
	v_lshlrev_b64 v[0:1], 3, v[13:14]
	v_add_f32_e32 v7, v7, v44
	v_add_co_u32_e32 v0, vcc, v30, v0
	v_addc_co_u32_e32 v1, vcc, v36, v1, vcc
	v_mov_b32_e32 v2, v11
	global_store_dwordx2 v[0:1], v[6:7], off
	v_mad_u64_u32 v[5:6], s[0:1], s3, v5, v[2:3]
	v_lshlrev_b64 v[0:1], 3, v[8:9]
	v_add_co_u32_e32 v0, vcc, v30, v0
	v_addc_co_u32_e32 v1, vcc, v36, v1, vcc
	v_mov_b32_e32 v11, v5
	global_store_dwordx2 v[0:1], v[17:18], off
	v_lshlrev_b64 v[0:1], 3, v[10:11]
	v_add_co_u32_e32 v0, vcc, v30, v0
	v_addc_co_u32_e32 v1, vcc, v36, v1, vcc
	global_store_dwordx2 v[0:1], v[3:4], off
.LBB0_23:
	s_endpgm
	.section	.rodata,"a",@progbits
	.p2align	6, 0x0
	.amdhsa_kernel fft_rtc_fwd_len1404_factors_2_2_3_13_3_3_wgs_117_tpt_117_halfLds_sp_ip_CI_sbrr_dirReg
		.amdhsa_group_segment_fixed_size 0
		.amdhsa_private_segment_fixed_size 0
		.amdhsa_kernarg_size 88
		.amdhsa_user_sgpr_count 6
		.amdhsa_user_sgpr_private_segment_buffer 1
		.amdhsa_user_sgpr_dispatch_ptr 0
		.amdhsa_user_sgpr_queue_ptr 0
		.amdhsa_user_sgpr_kernarg_segment_ptr 1
		.amdhsa_user_sgpr_dispatch_id 0
		.amdhsa_user_sgpr_flat_scratch_init 0
		.amdhsa_user_sgpr_private_segment_size 0
		.amdhsa_uses_dynamic_stack 0
		.amdhsa_system_sgpr_private_segment_wavefront_offset 0
		.amdhsa_system_sgpr_workgroup_id_x 1
		.amdhsa_system_sgpr_workgroup_id_y 0
		.amdhsa_system_sgpr_workgroup_id_z 0
		.amdhsa_system_sgpr_workgroup_info 0
		.amdhsa_system_vgpr_workitem_id 0
		.amdhsa_next_free_vgpr 89
		.amdhsa_next_free_sgpr 24
		.amdhsa_reserve_vcc 1
		.amdhsa_reserve_flat_scratch 0
		.amdhsa_float_round_mode_32 0
		.amdhsa_float_round_mode_16_64 0
		.amdhsa_float_denorm_mode_32 3
		.amdhsa_float_denorm_mode_16_64 3
		.amdhsa_dx10_clamp 1
		.amdhsa_ieee_mode 1
		.amdhsa_fp16_overflow 0
		.amdhsa_exception_fp_ieee_invalid_op 0
		.amdhsa_exception_fp_denorm_src 0
		.amdhsa_exception_fp_ieee_div_zero 0
		.amdhsa_exception_fp_ieee_overflow 0
		.amdhsa_exception_fp_ieee_underflow 0
		.amdhsa_exception_fp_ieee_inexact 0
		.amdhsa_exception_int_div_zero 0
	.end_amdhsa_kernel
	.text
.Lfunc_end0:
	.size	fft_rtc_fwd_len1404_factors_2_2_3_13_3_3_wgs_117_tpt_117_halfLds_sp_ip_CI_sbrr_dirReg, .Lfunc_end0-fft_rtc_fwd_len1404_factors_2_2_3_13_3_3_wgs_117_tpt_117_halfLds_sp_ip_CI_sbrr_dirReg
                                        ; -- End function
	.section	.AMDGPU.csdata,"",@progbits
; Kernel info:
; codeLenInByte = 10316
; NumSgprs: 28
; NumVgprs: 89
; ScratchSize: 0
; MemoryBound: 0
; FloatMode: 240
; IeeeMode: 1
; LDSByteSize: 0 bytes/workgroup (compile time only)
; SGPRBlocks: 3
; VGPRBlocks: 22
; NumSGPRsForWavesPerEU: 28
; NumVGPRsForWavesPerEU: 89
; Occupancy: 2
; WaveLimiterHint : 1
; COMPUTE_PGM_RSRC2:SCRATCH_EN: 0
; COMPUTE_PGM_RSRC2:USER_SGPR: 6
; COMPUTE_PGM_RSRC2:TRAP_HANDLER: 0
; COMPUTE_PGM_RSRC2:TGID_X_EN: 1
; COMPUTE_PGM_RSRC2:TGID_Y_EN: 0
; COMPUTE_PGM_RSRC2:TGID_Z_EN: 0
; COMPUTE_PGM_RSRC2:TIDIG_COMP_CNT: 0
	.type	__hip_cuid_47be8434a100268b,@object ; @__hip_cuid_47be8434a100268b
	.section	.bss,"aw",@nobits
	.globl	__hip_cuid_47be8434a100268b
__hip_cuid_47be8434a100268b:
	.byte	0                               ; 0x0
	.size	__hip_cuid_47be8434a100268b, 1

	.ident	"AMD clang version 19.0.0git (https://github.com/RadeonOpenCompute/llvm-project roc-6.4.0 25133 c7fe45cf4b819c5991fe208aaa96edf142730f1d)"
	.section	".note.GNU-stack","",@progbits
	.addrsig
	.addrsig_sym __hip_cuid_47be8434a100268b
	.amdgpu_metadata
---
amdhsa.kernels:
  - .args:
      - .actual_access:  read_only
        .address_space:  global
        .offset:         0
        .size:           8
        .value_kind:     global_buffer
      - .offset:         8
        .size:           8
        .value_kind:     by_value
      - .actual_access:  read_only
        .address_space:  global
        .offset:         16
        .size:           8
        .value_kind:     global_buffer
      - .actual_access:  read_only
        .address_space:  global
        .offset:         24
        .size:           8
        .value_kind:     global_buffer
      - .offset:         32
        .size:           8
        .value_kind:     by_value
      - .actual_access:  read_only
        .address_space:  global
        .offset:         40
        .size:           8
        .value_kind:     global_buffer
      - .actual_access:  read_only
        .address_space:  global
        .offset:         48
        .size:           8
        .value_kind:     global_buffer
      - .offset:         56
        .size:           4
        .value_kind:     by_value
      - .actual_access:  read_only
        .address_space:  global
        .offset:         64
        .size:           8
        .value_kind:     global_buffer
      - .actual_access:  read_only
        .address_space:  global
        .offset:         72
        .size:           8
        .value_kind:     global_buffer
      - .address_space:  global
        .offset:         80
        .size:           8
        .value_kind:     global_buffer
    .group_segment_fixed_size: 0
    .kernarg_segment_align: 8
    .kernarg_segment_size: 88
    .language:       OpenCL C
    .language_version:
      - 2
      - 0
    .max_flat_workgroup_size: 117
    .name:           fft_rtc_fwd_len1404_factors_2_2_3_13_3_3_wgs_117_tpt_117_halfLds_sp_ip_CI_sbrr_dirReg
    .private_segment_fixed_size: 0
    .sgpr_count:     28
    .sgpr_spill_count: 0
    .symbol:         fft_rtc_fwd_len1404_factors_2_2_3_13_3_3_wgs_117_tpt_117_halfLds_sp_ip_CI_sbrr_dirReg.kd
    .uniform_work_group_size: 1
    .uses_dynamic_stack: false
    .vgpr_count:     89
    .vgpr_spill_count: 0
    .wavefront_size: 64
amdhsa.target:   amdgcn-amd-amdhsa--gfx906
amdhsa.version:
  - 1
  - 2
...

	.end_amdgpu_metadata
